;; amdgpu-corpus repo=ROCm/rocFFT kind=compiled arch=gfx950 opt=O3
	.text
	.amdgcn_target "amdgcn-amd-amdhsa--gfx950"
	.amdhsa_code_object_version 6
	.protected	bluestein_single_back_len48_dim1_sp_op_CI_CI ; -- Begin function bluestein_single_back_len48_dim1_sp_op_CI_CI
	.globl	bluestein_single_back_len48_dim1_sp_op_CI_CI
	.p2align	8
	.type	bluestein_single_back_len48_dim1_sp_op_CI_CI,@function
bluestein_single_back_len48_dim1_sp_op_CI_CI: ; @bluestein_single_back_len48_dim1_sp_op_CI_CI
; %bb.0:
	s_load_dwordx4 s[8:11], s[0:1], 0x28
	v_lshrrev_b32_e32 v1, 4, v0
	v_lshl_or_b32 v16, s2, 2, v1
	v_mov_b32_e32 v17, 0
	s_waitcnt lgkmcnt(0)
	v_cmp_gt_u64_e32 vcc, s[8:9], v[16:17]
	s_and_saveexec_b64 s[2:3], vcc
	s_cbranch_execz .LBB0_23
; %bb.1:
	s_load_dwordx2 s[12:13], s[0:1], 0x0
	s_load_dwordx2 s[8:9], s[0:1], 0x38
	v_and_b32_e32 v17, 15, v0
	v_mul_u32_u24_e32 v26, 48, v1
	v_cmp_lt_u32_e64 s[2:3], 11, v17
	v_cmp_gt_u32_e32 vcc, 12, v17
	v_lshlrev_b32_e32 v27, 3, v17
	v_or_b32_e32 v12, v26, v17
	s_and_saveexec_b64 s[14:15], vcc
	s_cbranch_execz .LBB0_3
; %bb.2:
	s_load_dwordx2 s[4:5], s[0:1], 0x18
	v_mov_b32_e32 v0, s10
	v_mov_b32_e32 v1, s11
	;; [unrolled: 1-line block ×3, first 2 shown]
	v_lshl_add_u32 v22, v26, 3, v27
	s_waitcnt lgkmcnt(0)
	s_load_dwordx4 s[4:7], s[4:5], 0x0
	s_waitcnt lgkmcnt(0)
	v_mad_u64_u32 v[2:3], s[10:11], s6, v16, 0
	v_mad_u64_u32 v[4:5], s[10:11], s4, v17, 0
	v_mov_b32_e32 v6, v3
	v_mov_b32_e32 v8, v5
	v_mad_u64_u32 v[6:7], s[6:7], s7, v16, v[6:7]
	v_mov_b32_e32 v3, v6
	v_mad_u64_u32 v[6:7], s[6:7], s5, v17, v[8:9]
	v_mov_b32_e32 v5, v6
	v_lshl_add_u64 v[0:1], v[2:3], 3, v[0:1]
	v_lshl_add_u64 v[0:1], v[4:5], 3, v[0:1]
	global_load_dwordx2 v[2:3], v[0:1], off
	v_mad_u64_u32 v[0:1], s[6:7], s4, v13, v[0:1]
	s_mul_i32 s10, s5, 0x60
	v_add_u32_e32 v1, s10, v1
	global_load_dwordx2 v[4:5], v27, s[12:13]
	global_load_dwordx2 v[6:7], v27, s[12:13] offset:96
	global_load_dwordx2 v[8:9], v[0:1], off
	v_mad_u64_u32 v[0:1], s[6:7], s4, v13, v[0:1]
	v_add_u32_e32 v1, s10, v1
	global_load_dwordx2 v[10:11], v[0:1], off
	global_load_dwordx2 v[14:15], v27, s[12:13] offset:192
	v_mad_u64_u32 v[0:1], s[4:5], s4, v13, v[0:1]
	v_add_u32_e32 v1, s10, v1
	global_load_dwordx2 v[18:19], v27, s[12:13] offset:288
	global_load_dwordx2 v[20:21], v[0:1], off
	v_lshlrev_b32_e32 v13, 3, v12
	s_waitcnt vmcnt(6)
	v_mul_f32_e32 v0, v3, v5
	v_mul_f32_e32 v1, v2, v5
	v_fmac_f32_e32 v0, v2, v4
	v_fma_f32 v1, v3, v4, -v1
	ds_write_b64 v13, v[0:1]
	s_waitcnt vmcnt(4)
	v_mul_f32_e32 v0, v9, v7
	v_mul_f32_e32 v1, v8, v7
	s_waitcnt vmcnt(2)
	v_mul_f32_e32 v2, v11, v15
	v_mul_f32_e32 v3, v10, v15
	v_fmac_f32_e32 v0, v8, v6
	v_fma_f32 v1, v9, v6, -v1
	v_fmac_f32_e32 v2, v10, v14
	v_fma_f32 v3, v11, v14, -v3
	ds_write2_b64 v22, v[0:1], v[2:3] offset0:12 offset1:24
	s_waitcnt vmcnt(0)
	v_mul_f32_e32 v0, v21, v19
	v_mul_f32_e32 v1, v20, v19
	v_fmac_f32_e32 v0, v20, v18
	v_fma_f32 v1, v21, v18, -v1
	ds_write_b64 v22, v[0:1] offset:288
.LBB0_3:
	s_or_b64 exec, exec, s[14:15]
	s_load_dwordx2 s[4:5], s[0:1], 0x20
	s_load_dwordx2 s[10:11], s[0:1], 0x8
	v_lshlrev_b32_e32 v28, 3, v26
	s_waitcnt lgkmcnt(0)
	; wave barrier
	s_waitcnt lgkmcnt(0)
                                        ; implicit-def: $vgpr6
                                        ; implicit-def: $vgpr8
                                        ; implicit-def: $vgpr4
                                        ; implicit-def: $vgpr2
	s_and_saveexec_b64 s[0:1], vcc
	s_cbranch_execz .LBB0_5
; %bb.4:
	v_lshlrev_b32_e32 v0, 3, v12
	v_lshl_add_u32 v6, v17, 3, v28
	ds_read_b64 v[4:5], v0
	ds_read2_b64 v[0:3], v6 offset0:12 offset1:24
	ds_read_b64 v[10:11], v6 offset:288
	s_waitcnt lgkmcnt(0)
	v_mov_b32_e32 v6, v4
	v_mov_b32_e32 v7, v0
	v_mov_b32_e32 v8, v2
	v_mov_b32_e32 v9, v10
	v_mov_b32_e32 v4, v1
	v_mov_b32_e32 v2, v11
.LBB0_5:
	s_or_b64 exec, exec, s[0:1]
	v_pk_add_f32 v[0:1], v[6:7], v[8:9] neg_lo:[0,1] neg_hi:[0,1]
	v_pk_add_f32 v[2:3], v[4:5], v[2:3] neg_lo:[0,1] neg_hi:[0,1]
	v_lshlrev_b32_e32 v30, 2, v17
	v_pk_add_f32 v[8:9], v[0:1], v[2:3]
	v_pk_add_f32 v[10:11], v[0:1], v[2:3] neg_lo:[0,1] neg_hi:[0,1]
	s_waitcnt lgkmcnt(0)
	v_mov_b32_e32 v11, v9
	; wave barrier
	s_and_saveexec_b64 s[0:1], vcc
	s_cbranch_execz .LBB0_7
; %bb.6:
	v_mov_b32_e32 v8, v6
	v_mov_b32_e32 v9, v5
	;; [unrolled: 1-line block ×8, first 2 shown]
	v_pk_fma_f32 v[18:19], v[8:9], 2.0, v[14:15] op_sel_hi:[1,0,1] neg_lo:[0,0,1] neg_hi:[0,0,1]
	v_pk_fma_f32 v[0:1], v[6:7], 2.0, v[0:1] op_sel_hi:[1,0,1] neg_lo:[0,0,1] neg_hi:[0,0,1]
	v_add_lshl_u32 v13, v26, v30, 3
	v_pk_add_f32 v[8:9], v[18:19], v[0:1] neg_lo:[0,1] neg_hi:[0,1]
	v_pk_fma_f32 v[2:3], v[14:15], 2.0, v[10:11] op_sel_hi:[1,0,1] neg_lo:[0,0,1] neg_hi:[0,0,1]
	v_pk_fma_f32 v[0:1], v[18:19], 2.0, v[8:9] op_sel_hi:[1,0,1] neg_lo:[0,0,1] neg_hi:[0,0,1]
	ds_write_b128 v13, v[0:3]
	ds_write_b128 v13, v[8:11] offset:16
.LBB0_7:
	s_or_b64 exec, exec, s[0:1]
	v_and_b32_e32 v13, 3, v17
	v_lshlrev_b32_e32 v0, 4, v13
	s_load_dwordx4 s[4:7], s[4:5], 0x0
	s_waitcnt lgkmcnt(0)
	; wave barrier
	s_waitcnt lgkmcnt(0)
	global_load_dwordx4 v[0:3], v0, s[10:11]
	v_lshlrev_b32_e32 v29, 3, v12
	ds_read2_b64 v[4:7], v29 offset1:16
	ds_read_b64 v[8:9], v29 offset:256
	v_lshrrev_b32_e32 v12, 2, v17
	v_mul_u32_u24_e32 v12, 12, v12
	v_or_b32_e32 v12, v12, v13
	v_add_lshl_u32 v31, v26, v12, 3
	s_mov_b32 s0, 0x3f5db3d7
	s_waitcnt lgkmcnt(0)
	; wave barrier
	s_waitcnt vmcnt(0) lgkmcnt(0)
	v_pk_mul_f32 v[12:13], v[6:7], v[0:1] op_sel_hi:[1,0]
	v_pk_mul_f32 v[14:15], v[8:9], v[2:3] op_sel_hi:[1,0]
	v_mov_b32_e32 v18, v3
	v_pk_fma_f32 v[20:21], v[6:7], v[0:1], v[12:13] op_sel:[0,1,1] op_sel_hi:[1,1,0] neg_lo:[1,0,0] neg_hi:[1,0,0]
	v_pk_fma_f32 v[6:7], v[6:7], v[0:1], v[12:13] op_sel:[0,1,1] op_sel_hi:[1,1,0]
	v_pk_fma_f32 v[12:13], v[8:9], v[18:19], v[14:15] op_sel:[0,0,1] op_sel_hi:[1,0,0] neg_lo:[1,0,0] neg_hi:[1,0,0]
	v_pk_fma_f32 v[8:9], v[8:9], v[18:19], v[14:15] op_sel:[0,0,1] op_sel_hi:[1,0,0]
	v_mov_b32_e32 v14, v21
	v_mov_b32_e32 v9, v13
	v_mov_b32_e32 v15, v6
	v_mov_b32_e32 v12, v13
	v_mov_b32_e32 v13, v8
	v_mov_b32_e32 v7, v21
	v_pk_add_f32 v[18:19], v[14:15], v[12:13]
	v_pk_add_f32 v[6:7], v[6:7], v[8:9] neg_lo:[0,1] neg_hi:[0,1]
	v_pk_add_f32 v[8:9], v[4:5], v[14:15]
	v_pk_fma_f32 v[4:5], -0.5, v[18:19], v[4:5] op_sel_hi:[0,1,1]
	v_pk_add_f32 v[12:13], v[8:9], v[12:13]
	v_pk_fma_f32 v[8:9], v[6:7], s[0:1], v[4:5] op_sel_hi:[1,0,1] neg_lo:[1,0,0] neg_hi:[1,0,0]
	v_pk_fma_f32 v[18:19], v[6:7], s[0:1], v[4:5] op_sel_hi:[1,0,1]
	v_mov_b32_e32 v5, v9
	v_mov_b32_e32 v4, v18
	;; [unrolled: 1-line block ×4, first 2 shown]
	ds_write2_b64 v31, v[12:13], v[4:5] offset1:4
	ds_write_b64 v31, v[6:7] offset:64
	s_waitcnt lgkmcnt(0)
	; wave barrier
	s_waitcnt lgkmcnt(0)
	s_and_saveexec_b64 s[0:1], s[2:3]
	s_xor_b64 s[0:1], exec, s[0:1]
	s_andn2_saveexec_b64 s[0:1], s[0:1]
	s_cbranch_execz .LBB0_9
; %bb.8:
	ds_read2_b64 v[12:15], v29 offset1:12
	ds_read2_b64 v[8:11], v29 offset0:24 offset1:36
	s_waitcnt lgkmcnt(1)
	v_mov_b32_e32 v18, v14
	s_waitcnt lgkmcnt(0)
	v_mov_b32_e32 v19, v9
	v_mov_b32_e32 v9, v15
.LBB0_9:
	s_or_b64 exec, exec, s[0:1]
	v_add_u32_e32 v4, -12, v17
	v_cndmask_b32_e32 v4, v4, v17, vcc
	v_mul_hi_i32_i24_e32 v5, 24, v4
	v_mul_i32_i24_e32 v4, 24, v4
	v_lshl_add_u64 v[20:21], s[10:11], 0, v[4:5]
	global_load_dwordx4 v[4:7], v[20:21], off offset:64
	global_load_dwordx2 v[14:15], v[20:21], off offset:80
	v_mov_b32_e32 v22, v19
	v_mov_b32_e32 v33, v13
	;; [unrolled: 1-line block ×4, first 2 shown]
	s_waitcnt vmcnt(1)
	v_pk_mul_f32 v[34:35], v[8:9], v[4:5]
	s_nop 0
	v_mov_b32_e32 v34, v7
	v_pk_mul_f32 v[36:37], v[18:19], v[6:7]
	v_mov_b32_e32 v40, v35
	v_pk_mul_f32 v[34:35], v[8:9], v[34:35]
	v_mov_b32_e32 v32, v5
	s_waitcnt vmcnt(0)
	v_pk_mul_f32 v[38:39], v[10:11], v[14:15]
	v_mov_b32_e32 v36, v15
	v_pk_fma_f32 v[22:23], v[22:23], v[6:7], v[34:35]
	v_pk_mul_f32 v[42:43], v[18:19], v[32:33]
	v_mov_b32_e32 v44, v37
	v_pk_mul_f32 v[10:11], v[10:11], v[36:37]
	v_mov_b32_e32 v32, v38
	v_mov_b32_e32 v36, v39
	v_pk_fma_f32 v[18:19], v[18:19], v[4:5], v[40:41] neg_lo:[0,0,1] neg_hi:[0,0,1]
	v_mov_b32_e32 v37, v22
	v_pk_fma_f32 v[8:9], v[8:9], v[6:7], v[44:45] neg_lo:[0,0,1] neg_hi:[0,0,1]
	v_add_f32_e32 v19, v13, v13
	v_pk_add_f32 v[22:23], v[32:33], v[36:37] neg_lo:[0,1] neg_hi:[0,1]
	v_pk_fma_f32 v[20:21], v[20:21], v[4:5], v[42:43]
	v_pk_fma_f32 v[10:11], v[24:25], v[14:15], v[10:11]
	v_add_f32_e32 v24, v18, v18
	v_pk_add_f32 v[8:9], v[12:13], v[8:9] neg_lo:[0,1] neg_hi:[0,1]
	v_pk_add_f32 v[18:19], v[18:19], v[22:23] neg_lo:[0,1] neg_hi:[0,1]
	v_mov_b32_e32 v25, v20
	v_mov_b32_e32 v9, v10
	v_fma_f32 v12, v12, 2.0, -v8
	v_mov_b32_e32 v13, v8
	v_mov_b32_e32 v8, v18
	v_pk_add_f32 v[8:9], v[24:25], v[8:9] neg_lo:[0,1] neg_hi:[0,1]
	v_mov_b32_e32 v32, v23
	v_fma_f32 v33, v20, 2.0, -v9
	v_pk_add_f32 v[10:11], v[12:13], v[8:9] neg_lo:[0,1] neg_hi:[0,1]
	v_pk_add_f32 v[20:21], v[18:19], v[32:33]
	v_pk_add_f32 v[8:9], v[18:19], v[32:33] neg_lo:[0,1] neg_hi:[0,1]
	v_mov_b32_e32 v18, v23
	v_mov_b32_e32 v21, v9
	v_pk_fma_f32 v[12:13], v[12:13], 2.0, v[10:11] op_sel_hi:[1,0,1] neg_lo:[0,0,1] neg_hi:[0,0,1]
	v_pk_fma_f32 v[18:19], v[18:19], 2.0, v[20:21] op_sel_hi:[1,0,1] neg_lo:[0,0,1] neg_hi:[0,0,1]
	s_and_saveexec_b64 s[0:1], vcc
	s_cbranch_execz .LBB0_11
; %bb.10:
	v_mov_b32_e32 v8, v12
	v_mov_b32_e32 v9, v19
	ds_write_b64 v29, v[8:9]
	v_lshl_add_u32 v24, v17, 3, v28
	v_mov_b32_e32 v8, v13
	v_mov_b32_e32 v9, v18
	;; [unrolled: 1-line block ×4, first 2 shown]
	ds_write2_b64 v24, v[8:9], v[22:23] offset0:12 offset1:24
	v_mov_b32_e32 v8, v11
	v_mov_b32_e32 v9, v20
	ds_write_b64 v24, v[8:9] offset:288
.LBB0_11:
	s_or_b64 exec, exec, s[0:1]
	s_waitcnt lgkmcnt(0)
	; wave barrier
	s_waitcnt lgkmcnt(0)
	s_and_saveexec_b64 s[0:1], vcc
	s_cbranch_execz .LBB0_13
; %bb.12:
	global_load_dwordx2 v[8:9], v27, s[12:13] offset:384
	s_add_u32 s10, s12, 0x180
	s_addc_u32 s11, s13, 0
	global_load_dwordx2 v[32:33], v27, s[10:11] offset:96
	global_load_dwordx2 v[34:35], v27, s[10:11] offset:192
	;; [unrolled: 1-line block ×3, first 2 shown]
	ds_read_b64 v[22:23], v29
	v_lshl_add_u32 v40, v26, 3, v27
	s_waitcnt vmcnt(3) lgkmcnt(0)
	v_mul_f32_e32 v24, v23, v9
	v_mul_f32_e32 v25, v22, v9
	v_fma_f32 v24, v22, v8, -v24
	v_fmac_f32_e32 v25, v23, v8
	ds_write_b64 v29, v[24:25]
	ds_read2_b64 v[22:25], v40 offset0:12 offset1:24
	ds_read_b64 v[8:9], v40 offset:288
	s_waitcnt vmcnt(2) lgkmcnt(1)
	v_mul_f32_e32 v38, v23, v33
	v_mul_f32_e32 v39, v22, v33
	s_waitcnt vmcnt(1)
	v_mul_f32_e32 v41, v25, v35
	v_mul_f32_e32 v33, v24, v35
	s_waitcnt vmcnt(0) lgkmcnt(0)
	v_mul_f32_e32 v42, v9, v37
	v_mul_f32_e32 v35, v8, v37
	v_fma_f32 v38, v22, v32, -v38
	v_fmac_f32_e32 v39, v23, v32
	v_fma_f32 v32, v24, v34, -v41
	v_fmac_f32_e32 v33, v25, v34
	;; [unrolled: 2-line block ×3, first 2 shown]
	ds_write2_b64 v40, v[38:39], v[32:33] offset0:12 offset1:24
	ds_write_b64 v40, v[34:35] offset:288
.LBB0_13:
	s_or_b64 exec, exec, s[0:1]
	s_waitcnt lgkmcnt(0)
	; wave barrier
	s_waitcnt lgkmcnt(0)
	s_and_saveexec_b64 s[0:1], s[2:3]
	s_xor_b64 s[0:1], exec, s[0:1]
	s_andn2_saveexec_b64 s[0:1], s[0:1]
	s_cbranch_execz .LBB0_15
; %bb.14:
	v_lshl_add_u32 v18, v17, 3, v28
	ds_read_b64 v[12:13], v29
	ds_read2_b64 v[8:11], v18 offset0:12 offset1:24
	ds_read_b64 v[22:23], v18 offset:288
	s_waitcnt lgkmcnt(2)
	v_mov_b32_e32 v19, v13
	s_waitcnt lgkmcnt(1)
	v_mov_b32_e32 v18, v9
	s_waitcnt lgkmcnt(0)
	v_mov_b32_e32 v20, v23
	v_mov_b32_e32 v21, v11
	v_mov_b32_e32 v13, v8
	v_mov_b32_e32 v11, v22
.LBB0_15:
	s_or_b64 exec, exec, s[0:1]
	v_pk_add_f32 v[8:9], v[12:13], v[10:11] neg_lo:[0,1] neg_hi:[0,1]
	v_pk_add_f32 v[20:21], v[18:19], v[20:21] neg_lo:[0,1] neg_hi:[0,1]
	v_mov_b32_e32 v24, v0
	v_pk_add_f32 v[10:11], v[20:21], v[8:9]
	v_pk_add_f32 v[32:33], v[20:21], v[8:9] neg_lo:[0,1] neg_hi:[0,1]
	v_mov_b32_e32 v25, v0
	v_mov_b32_e32 v0, v1
	;; [unrolled: 1-line block ×6, first 2 shown]
	s_waitcnt lgkmcnt(0)
	; wave barrier
	s_and_saveexec_b64 s[0:1], vcc
	s_cbranch_execz .LBB0_17
; %bb.16:
	v_mov_b32_e32 v32, v12
	v_mov_b32_e32 v33, v19
	;; [unrolled: 1-line block ×8, first 2 shown]
	v_pk_fma_f32 v[32:33], v[32:33], 2.0, v[34:35] op_sel_hi:[1,0,1] neg_lo:[0,0,1] neg_hi:[0,0,1]
	v_pk_fma_f32 v[8:9], v[12:13], 2.0, v[8:9] op_sel_hi:[1,0,1] neg_lo:[0,0,1] neg_hi:[0,0,1]
	v_add_lshl_u32 v30, v26, v30, 3
	v_pk_add_f32 v[8:9], v[32:33], v[8:9] neg_lo:[0,1] neg_hi:[0,1]
	v_pk_fma_f32 v[20:21], v[34:35], 2.0, v[10:11] op_sel_hi:[1,0,1] neg_lo:[0,0,1] neg_hi:[0,0,1]
	v_pk_fma_f32 v[18:19], v[32:33], 2.0, v[8:9] op_sel_hi:[1,0,1] neg_lo:[0,0,1] neg_hi:[0,0,1]
	ds_write_b128 v30, v[18:21]
	ds_write_b128 v30, v[8:11] offset:16
.LBB0_17:
	s_or_b64 exec, exec, s[0:1]
	s_waitcnt lgkmcnt(0)
	; wave barrier
	s_waitcnt lgkmcnt(0)
	ds_read2_b64 v[18:21], v29 offset1:16
	ds_read_b64 v[8:9], v29 offset:256
	s_mov_b32 s0, 0x3f5db3d7
	s_waitcnt lgkmcnt(0)
	; wave barrier
	s_waitcnt lgkmcnt(0)
	v_pk_mul_f32 v[0:1], v[0:1], v[20:21]
	s_nop 0
	v_pk_fma_f32 v[12:13], v[24:25], v[20:21], v[0:1] op_sel:[0,0,1] op_sel_hi:[1,1,0]
	v_pk_fma_f32 v[0:1], v[24:25], v[20:21], v[0:1] op_sel:[0,0,1] op_sel_hi:[1,1,0] neg_lo:[0,0,1] neg_hi:[0,0,1]
	s_nop 0
	v_mov_b32_e32 v13, v1
	v_pk_mul_f32 v[0:1], v[2:3], v[8:9]
	s_nop 0
	v_pk_fma_f32 v[2:3], v[22:23], v[8:9], v[0:1] op_sel:[0,0,1] op_sel_hi:[1,1,0]
	v_pk_fma_f32 v[0:1], v[22:23], v[8:9], v[0:1] op_sel:[0,0,1] op_sel_hi:[1,1,0] neg_lo:[0,0,1] neg_hi:[0,0,1]
	s_nop 0
	v_mov_b32_e32 v3, v1
	v_pk_add_f32 v[0:1], v[18:19], v[12:13]
	v_pk_add_f32 v[8:9], v[12:13], v[2:3]
	;; [unrolled: 1-line block ×3, first 2 shown]
	v_pk_add_f32 v[2:3], v[12:13], v[2:3] neg_lo:[0,1] neg_hi:[0,1]
	v_pk_fma_f32 v[8:9], -0.5, v[8:9], v[18:19] op_sel_hi:[0,1,1]
	v_pk_mul_f32 v[2:3], v[2:3], s[0:1] op_sel_hi:[1,0]
	s_nop 0
	v_pk_add_f32 v[12:13], v[2:3], v[8:9] op_sel:[1,0] op_sel_hi:[0,1]
	v_pk_add_f32 v[2:3], v[8:9], v[2:3] op_sel:[0,1] op_sel_hi:[1,0] neg_lo:[0,1] neg_hi:[0,1]
	v_mov_b32_e32 v9, v13
	v_mov_b32_e32 v8, v2
	ds_write2_b64 v31, v[0:1], v[8:9] offset1:4
	v_mov_b32_e32 v8, v12
	v_mov_b32_e32 v9, v3
	ds_write_b64 v31, v[8:9] offset:64
	s_waitcnt lgkmcnt(0)
	; wave barrier
	s_waitcnt lgkmcnt(0)
	s_and_saveexec_b64 s[0:1], s[2:3]
	s_xor_b64 s[0:1], exec, s[0:1]
	s_andn2_saveexec_b64 s[0:1], s[0:1]
	s_cbranch_execz .LBB0_19
; %bb.18:
	ds_read2_b64 v[8:11], v29 offset0:24 offset1:36
	ds_read2_b64 v[0:3], v29 offset1:12
	s_waitcnt lgkmcnt(1)
	v_mov_b32_e32 v12, v8
	s_waitcnt lgkmcnt(0)
	v_mov_b32_e32 v13, v3
	v_mov_b32_e32 v3, v9
.LBB0_19:
	s_or_b64 exec, exec, s[0:1]
	s_and_saveexec_b64 s[0:1], vcc
	s_cbranch_execz .LBB0_21
; %bb.20:
	v_pk_mul_f32 v[8:9], v[6:7], v[2:3] op_sel:[0,1]
	v_pk_mul_f32 v[18:19], v[4:5], v[12:13] op_sel:[0,1]
	v_mov_b32_e32 v20, v11
	v_pk_mul_f32 v[20:21], v[14:15], v[20:21] op_sel_hi:[1,0]
	v_pk_fma_f32 v[22:23], v[6:7], v[12:13], v[8:9] op_sel:[0,0,1] op_sel_hi:[1,1,0]
	v_pk_fma_f32 v[6:7], v[6:7], v[12:13], v[8:9] op_sel:[0,0,1] op_sel_hi:[1,0,0] neg_lo:[1,0,0] neg_hi:[1,0,0]
	v_pk_fma_f32 v[8:9], v[4:5], v[2:3], v[18:19] op_sel:[0,0,1] op_sel_hi:[1,1,0]
	v_pk_fma_f32 v[2:3], v[4:5], v[2:3], v[18:19] op_sel:[0,0,1] op_sel_hi:[1,0,0] neg_lo:[1,0,0] neg_hi:[1,0,0]
	v_pk_fma_f32 v[4:5], v[14:15], v[10:11], v[20:21] op_sel:[0,0,1] op_sel_hi:[1,0,0] neg_lo:[1,0,0] neg_hi:[1,0,0]
	v_mov_b32_e32 v9, v3
	v_pk_fma_f32 v[2:3], v[14:15], v[10:11], v[20:21] op_sel:[0,0,1] op_sel_hi:[1,1,0]
	v_mov_b32_e32 v23, v7
	v_mov_b32_e32 v3, v5
	v_pk_add_f32 v[6:7], v[0:1], v[22:23] neg_lo:[0,1] neg_hi:[0,1]
	v_pk_add_f32 v[2:3], v[8:9], v[2:3] neg_lo:[0,1] neg_hi:[0,1]
	v_pk_fma_f32 v[0:1], v[0:1], 2.0, v[6:7] op_sel_hi:[1,0,1] neg_lo:[0,0,1] neg_hi:[0,0,1]
	v_pk_fma_f32 v[4:5], v[8:9], 2.0, v[2:3] op_sel_hi:[1,0,1] neg_lo:[0,0,1] neg_hi:[0,0,1]
	v_lshl_add_u32 v8, v17, 3, v28
	v_pk_add_f32 v[4:5], v[0:1], v[4:5] neg_lo:[0,1] neg_hi:[0,1]
	s_nop 0
	v_pk_fma_f32 v[0:1], v[0:1], 2.0, v[4:5] op_sel_hi:[1,0,1] neg_lo:[0,0,1] neg_hi:[0,0,1]
	ds_write_b64 v29, v[0:1]
	v_pk_add_f32 v[0:1], v[6:7], v[2:3] op_sel:[0,1] op_sel_hi:[1,0]
	v_pk_add_f32 v[2:3], v[6:7], v[2:3] op_sel:[0,1] op_sel_hi:[1,0] neg_lo:[0,1] neg_hi:[0,1]
	s_nop 0
	v_mov_b32_e32 v1, v3
	v_pk_fma_f32 v[2:3], v[6:7], 2.0, v[0:1] op_sel_hi:[1,0,1] neg_lo:[0,0,1] neg_hi:[0,0,1]
	ds_write2_b64 v8, v[2:3], v[4:5] offset0:12 offset1:24
	ds_write_b64 v8, v[0:1] offset:288
.LBB0_21:
	s_or_b64 exec, exec, s[0:1]
	s_waitcnt lgkmcnt(0)
	; wave barrier
	s_waitcnt lgkmcnt(0)
	s_and_b64 exec, exec, vcc
	s_cbranch_execz .LBB0_23
; %bb.22:
	global_load_dwordx2 v[4:5], v27, s[12:13]
	global_load_dwordx2 v[6:7], v27, s[12:13] offset:96
	global_load_dwordx2 v[8:9], v27, s[12:13] offset:192
	;; [unrolled: 1-line block ×3, first 2 shown]
	v_mad_u64_u32 v[14:15], s[0:1], s6, v16, 0
	v_mad_u64_u32 v[18:19], s[2:3], s4, v17, 0
	v_lshl_add_u32 v21, v26, 3, v27
	v_mov_b32_e32 v20, v15
	v_mov_b32_e32 v23, 0x60
	;; [unrolled: 1-line block ×3, first 2 shown]
	ds_read2_b64 v[0:3], v21 offset0:12 offset1:24
	ds_read_b64 v[24:25], v29
	ds_read_b64 v[26:27], v21 offset:288
	v_mad_u64_u32 v[20:21], s[2:3], s7, v16, v[20:21]
	v_mov_b32_e32 v12, s8
	v_mov_b32_e32 v13, s9
	v_mad_u64_u32 v[16:17], s[2:3], s5, v17, v[22:23]
	v_mov_b32_e32 v15, v20
	v_mov_b32_e32 v19, v16
	v_lshl_add_u64 v[12:13], v[14:15], 3, v[12:13]
	v_lshl_add_u64 v[12:13], v[18:19], 3, v[12:13]
	s_mul_i32 s6, s5, 0x60
	v_mad_u64_u32 v[14:15], s[2:3], s4, v23, v[12:13]
	v_add_u32_e32 v15, s6, v15
	v_mad_u64_u32 v[16:17], s[2:3], s4, v23, v[14:15]
	v_add_u32_e32 v17, s6, v17
	s_mov_b32 s0, 0x55555555
	v_mad_u64_u32 v[18:19], s[2:3], s4, v23, v[16:17]
	s_mov_b32 s1, 0x3f955555
	v_add_u32_e32 v19, s6, v19
	s_waitcnt vmcnt(3) lgkmcnt(1)
	v_mul_f32_e32 v20, v25, v5
	v_mul_f32_e32 v5, v24, v5
	s_waitcnt vmcnt(2)
	v_mul_f32_e32 v21, v1, v7
	v_mul_f32_e32 v7, v0, v7
	s_waitcnt vmcnt(1)
	v_mul_f32_e32 v22, v3, v9
	v_mul_f32_e32 v9, v2, v9
	s_waitcnt vmcnt(0) lgkmcnt(0)
	v_mul_f32_e32 v23, v27, v11
	v_mul_f32_e32 v11, v26, v11
	v_fmac_f32_e32 v20, v24, v4
	v_fma_f32 v4, v4, v25, -v5
	v_fmac_f32_e32 v21, v0, v6
	v_fma_f32 v6, v6, v1, -v7
	;; [unrolled: 2-line block ×4, first 2 shown]
	v_cvt_f64_f32_e32 v[0:1], v20
	v_cvt_f64_f32_e32 v[2:3], v4
	;; [unrolled: 1-line block ×8, first 2 shown]
	v_mul_f64 v[0:1], v[0:1], s[0:1]
	v_mul_f64 v[2:3], v[2:3], s[0:1]
	;; [unrolled: 1-line block ×8, first 2 shown]
	v_cvt_f32_f64_e32 v0, v[0:1]
	v_cvt_f32_f64_e32 v1, v[2:3]
	;; [unrolled: 1-line block ×8, first 2 shown]
	global_store_dwordx2 v[12:13], v[0:1], off
	global_store_dwordx2 v[14:15], v[2:3], off
	;; [unrolled: 1-line block ×4, first 2 shown]
.LBB0_23:
	s_endpgm
	.section	.rodata,"a",@progbits
	.p2align	6, 0x0
	.amdhsa_kernel bluestein_single_back_len48_dim1_sp_op_CI_CI
		.amdhsa_group_segment_fixed_size 1536
		.amdhsa_private_segment_fixed_size 0
		.amdhsa_kernarg_size 104
		.amdhsa_user_sgpr_count 2
		.amdhsa_user_sgpr_dispatch_ptr 0
		.amdhsa_user_sgpr_queue_ptr 0
		.amdhsa_user_sgpr_kernarg_segment_ptr 1
		.amdhsa_user_sgpr_dispatch_id 0
		.amdhsa_user_sgpr_kernarg_preload_length 0
		.amdhsa_user_sgpr_kernarg_preload_offset 0
		.amdhsa_user_sgpr_private_segment_size 0
		.amdhsa_uses_dynamic_stack 0
		.amdhsa_enable_private_segment 0
		.amdhsa_system_sgpr_workgroup_id_x 1
		.amdhsa_system_sgpr_workgroup_id_y 0
		.amdhsa_system_sgpr_workgroup_id_z 0
		.amdhsa_system_sgpr_workgroup_info 0
		.amdhsa_system_vgpr_workitem_id 0
		.amdhsa_next_free_vgpr 46
		.amdhsa_next_free_sgpr 16
		.amdhsa_accum_offset 48
		.amdhsa_reserve_vcc 1
		.amdhsa_float_round_mode_32 0
		.amdhsa_float_round_mode_16_64 0
		.amdhsa_float_denorm_mode_32 3
		.amdhsa_float_denorm_mode_16_64 3
		.amdhsa_dx10_clamp 1
		.amdhsa_ieee_mode 1
		.amdhsa_fp16_overflow 0
		.amdhsa_tg_split 0
		.amdhsa_exception_fp_ieee_invalid_op 0
		.amdhsa_exception_fp_denorm_src 0
		.amdhsa_exception_fp_ieee_div_zero 0
		.amdhsa_exception_fp_ieee_overflow 0
		.amdhsa_exception_fp_ieee_underflow 0
		.amdhsa_exception_fp_ieee_inexact 0
		.amdhsa_exception_int_div_zero 0
	.end_amdhsa_kernel
	.text
.Lfunc_end0:
	.size	bluestein_single_back_len48_dim1_sp_op_CI_CI, .Lfunc_end0-bluestein_single_back_len48_dim1_sp_op_CI_CI
                                        ; -- End function
	.section	.AMDGPU.csdata,"",@progbits
; Kernel info:
; codeLenInByte = 2856
; NumSgprs: 22
; NumVgprs: 46
; NumAgprs: 0
; TotalNumVgprs: 46
; ScratchSize: 0
; MemoryBound: 0
; FloatMode: 240
; IeeeMode: 1
; LDSByteSize: 1536 bytes/workgroup (compile time only)
; SGPRBlocks: 2
; VGPRBlocks: 5
; NumSGPRsForWavesPerEU: 22
; NumVGPRsForWavesPerEU: 46
; AccumOffset: 48
; Occupancy: 8
; WaveLimiterHint : 1
; COMPUTE_PGM_RSRC2:SCRATCH_EN: 0
; COMPUTE_PGM_RSRC2:USER_SGPR: 2
; COMPUTE_PGM_RSRC2:TRAP_HANDLER: 0
; COMPUTE_PGM_RSRC2:TGID_X_EN: 1
; COMPUTE_PGM_RSRC2:TGID_Y_EN: 0
; COMPUTE_PGM_RSRC2:TGID_Z_EN: 0
; COMPUTE_PGM_RSRC2:TIDIG_COMP_CNT: 0
; COMPUTE_PGM_RSRC3_GFX90A:ACCUM_OFFSET: 11
; COMPUTE_PGM_RSRC3_GFX90A:TG_SPLIT: 0
	.text
	.p2alignl 6, 3212836864
	.fill 256, 4, 3212836864
	.type	__hip_cuid_e74dd50833367361,@object ; @__hip_cuid_e74dd50833367361
	.section	.bss,"aw",@nobits
	.globl	__hip_cuid_e74dd50833367361
__hip_cuid_e74dd50833367361:
	.byte	0                               ; 0x0
	.size	__hip_cuid_e74dd50833367361, 1

	.ident	"AMD clang version 19.0.0git (https://github.com/RadeonOpenCompute/llvm-project roc-6.4.0 25133 c7fe45cf4b819c5991fe208aaa96edf142730f1d)"
	.section	".note.GNU-stack","",@progbits
	.addrsig
	.addrsig_sym __hip_cuid_e74dd50833367361
	.amdgpu_metadata
---
amdhsa.kernels:
  - .agpr_count:     0
    .args:
      - .actual_access:  read_only
        .address_space:  global
        .offset:         0
        .size:           8
        .value_kind:     global_buffer
      - .actual_access:  read_only
        .address_space:  global
        .offset:         8
        .size:           8
        .value_kind:     global_buffer
      - .actual_access:  read_only
        .address_space:  global
        .offset:         16
        .size:           8
        .value_kind:     global_buffer
      - .actual_access:  read_only
        .address_space:  global
        .offset:         24
        .size:           8
        .value_kind:     global_buffer
      - .actual_access:  read_only
        .address_space:  global
        .offset:         32
        .size:           8
        .value_kind:     global_buffer
      - .offset:         40
        .size:           8
        .value_kind:     by_value
      - .address_space:  global
        .offset:         48
        .size:           8
        .value_kind:     global_buffer
      - .address_space:  global
        .offset:         56
        .size:           8
        .value_kind:     global_buffer
      - .address_space:  global
        .offset:         64
        .size:           8
        .value_kind:     global_buffer
      - .address_space:  global
        .offset:         72
        .size:           8
        .value_kind:     global_buffer
      - .offset:         80
        .size:           4
        .value_kind:     by_value
      - .address_space:  global
        .offset:         88
        .size:           8
        .value_kind:     global_buffer
      - .address_space:  global
        .offset:         96
        .size:           8
        .value_kind:     global_buffer
    .group_segment_fixed_size: 1536
    .kernarg_segment_align: 8
    .kernarg_segment_size: 104
    .language:       OpenCL C
    .language_version:
      - 2
      - 0
    .max_flat_workgroup_size: 64
    .name:           bluestein_single_back_len48_dim1_sp_op_CI_CI
    .private_segment_fixed_size: 0
    .sgpr_count:     22
    .sgpr_spill_count: 0
    .symbol:         bluestein_single_back_len48_dim1_sp_op_CI_CI.kd
    .uniform_work_group_size: 1
    .uses_dynamic_stack: false
    .vgpr_count:     46
    .vgpr_spill_count: 0
    .wavefront_size: 64
amdhsa.target:   amdgcn-amd-amdhsa--gfx950
amdhsa.version:
  - 1
  - 2
...

	.end_amdgpu_metadata
